;; amdgpu-corpus repo=ROCm/rocFFT kind=compiled arch=gfx906 opt=O3
	.text
	.amdgcn_target "amdgcn-amd-amdhsa--gfx906"
	.amdhsa_code_object_version 6
	.protected	fft_rtc_back_len1980_factors_11_2_3_3_5_2_wgs_198_tpt_198_halfLds_sp_op_CI_CI_unitstride_sbrr_C2R_dirReg ; -- Begin function fft_rtc_back_len1980_factors_11_2_3_3_5_2_wgs_198_tpt_198_halfLds_sp_op_CI_CI_unitstride_sbrr_C2R_dirReg
	.globl	fft_rtc_back_len1980_factors_11_2_3_3_5_2_wgs_198_tpt_198_halfLds_sp_op_CI_CI_unitstride_sbrr_C2R_dirReg
	.p2align	8
	.type	fft_rtc_back_len1980_factors_11_2_3_3_5_2_wgs_198_tpt_198_halfLds_sp_op_CI_CI_unitstride_sbrr_C2R_dirReg,@function
fft_rtc_back_len1980_factors_11_2_3_3_5_2_wgs_198_tpt_198_halfLds_sp_op_CI_CI_unitstride_sbrr_C2R_dirReg: ; @fft_rtc_back_len1980_factors_11_2_3_3_5_2_wgs_198_tpt_198_halfLds_sp_op_CI_CI_unitstride_sbrr_C2R_dirReg
; %bb.0:
	s_load_dwordx4 s[8:11], s[4:5], 0x58
	s_load_dwordx4 s[12:15], s[4:5], 0x0
	;; [unrolled: 1-line block ×3, first 2 shown]
	v_mul_u32_u24_e32 v1, 0x14b, v0
	v_add_u32_sdwa v5, s6, v1 dst_sel:DWORD dst_unused:UNUSED_PAD src0_sel:DWORD src1_sel:WORD_1
	v_mov_b32_e32 v3, 0
	s_waitcnt lgkmcnt(0)
	v_cmp_lt_u64_e64 s[0:1], s[14:15], 2
	v_mov_b32_e32 v1, 0
	v_mov_b32_e32 v6, v3
	s_and_b64 vcc, exec, s[0:1]
	v_mov_b32_e32 v2, 0
	s_cbranch_vccnz .LBB0_8
; %bb.1:
	s_load_dwordx2 s[0:1], s[4:5], 0x10
	s_add_u32 s2, s18, 8
	s_addc_u32 s3, s19, 0
	s_add_u32 s6, s16, 8
	v_mov_b32_e32 v1, 0
	s_addc_u32 s7, s17, 0
	v_mov_b32_e32 v2, 0
	s_waitcnt lgkmcnt(0)
	s_add_u32 s20, s0, 8
	v_mov_b32_e32 v21, v2
	s_addc_u32 s21, s1, 0
	s_mov_b64 s[22:23], 1
	v_mov_b32_e32 v20, v1
.LBB0_2:                                ; =>This Inner Loop Header: Depth=1
	s_load_dwordx2 s[24:25], s[20:21], 0x0
                                        ; implicit-def: $vgpr22_vgpr23
	s_waitcnt lgkmcnt(0)
	v_or_b32_e32 v4, s25, v6
	v_cmp_ne_u64_e32 vcc, 0, v[3:4]
	s_and_saveexec_b64 s[0:1], vcc
	s_xor_b64 s[26:27], exec, s[0:1]
	s_cbranch_execz .LBB0_4
; %bb.3:                                ;   in Loop: Header=BB0_2 Depth=1
	v_cvt_f32_u32_e32 v4, s24
	v_cvt_f32_u32_e32 v7, s25
	s_sub_u32 s0, 0, s24
	s_subb_u32 s1, 0, s25
	v_mac_f32_e32 v4, 0x4f800000, v7
	v_rcp_f32_e32 v4, v4
	v_mul_f32_e32 v4, 0x5f7ffffc, v4
	v_mul_f32_e32 v7, 0x2f800000, v4
	v_trunc_f32_e32 v7, v7
	v_mac_f32_e32 v4, 0xcf800000, v7
	v_cvt_u32_f32_e32 v7, v7
	v_cvt_u32_f32_e32 v4, v4
	v_mul_lo_u32 v8, s0, v7
	v_mul_hi_u32 v9, s0, v4
	v_mul_lo_u32 v11, s1, v4
	v_mul_lo_u32 v10, s0, v4
	v_add_u32_e32 v8, v9, v8
	v_add_u32_e32 v8, v8, v11
	v_mul_hi_u32 v9, v4, v10
	v_mul_lo_u32 v11, v4, v8
	v_mul_hi_u32 v13, v4, v8
	v_mul_hi_u32 v12, v7, v10
	v_mul_lo_u32 v10, v7, v10
	v_mul_hi_u32 v14, v7, v8
	v_add_co_u32_e32 v9, vcc, v9, v11
	v_addc_co_u32_e32 v11, vcc, 0, v13, vcc
	v_mul_lo_u32 v8, v7, v8
	v_add_co_u32_e32 v9, vcc, v9, v10
	v_addc_co_u32_e32 v9, vcc, v11, v12, vcc
	v_addc_co_u32_e32 v10, vcc, 0, v14, vcc
	v_add_co_u32_e32 v8, vcc, v9, v8
	v_addc_co_u32_e32 v9, vcc, 0, v10, vcc
	v_add_co_u32_e32 v4, vcc, v4, v8
	v_addc_co_u32_e32 v7, vcc, v7, v9, vcc
	v_mul_lo_u32 v8, s0, v7
	v_mul_hi_u32 v9, s0, v4
	v_mul_lo_u32 v10, s1, v4
	v_mul_lo_u32 v11, s0, v4
	v_add_u32_e32 v8, v9, v8
	v_add_u32_e32 v8, v8, v10
	v_mul_lo_u32 v12, v4, v8
	v_mul_hi_u32 v13, v4, v11
	v_mul_hi_u32 v14, v4, v8
	v_mul_hi_u32 v10, v7, v11
	v_mul_lo_u32 v11, v7, v11
	v_mul_hi_u32 v9, v7, v8
	v_add_co_u32_e32 v12, vcc, v13, v12
	v_addc_co_u32_e32 v13, vcc, 0, v14, vcc
	v_mul_lo_u32 v8, v7, v8
	v_add_co_u32_e32 v11, vcc, v12, v11
	v_addc_co_u32_e32 v10, vcc, v13, v10, vcc
	v_addc_co_u32_e32 v9, vcc, 0, v9, vcc
	v_add_co_u32_e32 v8, vcc, v10, v8
	v_addc_co_u32_e32 v9, vcc, 0, v9, vcc
	v_add_co_u32_e32 v4, vcc, v4, v8
	v_addc_co_u32_e32 v9, vcc, v7, v9, vcc
	v_mad_u64_u32 v[7:8], s[0:1], v5, v9, 0
	v_mul_hi_u32 v10, v5, v4
	v_add_co_u32_e32 v11, vcc, v10, v7
	v_addc_co_u32_e32 v12, vcc, 0, v8, vcc
	v_mad_u64_u32 v[7:8], s[0:1], v6, v4, 0
	v_mad_u64_u32 v[9:10], s[0:1], v6, v9, 0
	v_add_co_u32_e32 v4, vcc, v11, v7
	v_addc_co_u32_e32 v4, vcc, v12, v8, vcc
	v_addc_co_u32_e32 v7, vcc, 0, v10, vcc
	v_add_co_u32_e32 v4, vcc, v4, v9
	v_addc_co_u32_e32 v9, vcc, 0, v7, vcc
	v_mul_lo_u32 v10, s25, v4
	v_mul_lo_u32 v11, s24, v9
	v_mad_u64_u32 v[7:8], s[0:1], s24, v4, 0
	v_add3_u32 v8, v8, v11, v10
	v_sub_u32_e32 v10, v6, v8
	v_mov_b32_e32 v11, s25
	v_sub_co_u32_e32 v7, vcc, v5, v7
	v_subb_co_u32_e64 v10, s[0:1], v10, v11, vcc
	v_subrev_co_u32_e64 v11, s[0:1], s24, v7
	v_subbrev_co_u32_e64 v10, s[0:1], 0, v10, s[0:1]
	v_cmp_le_u32_e64 s[0:1], s25, v10
	v_cndmask_b32_e64 v12, 0, -1, s[0:1]
	v_cmp_le_u32_e64 s[0:1], s24, v11
	v_cndmask_b32_e64 v11, 0, -1, s[0:1]
	v_cmp_eq_u32_e64 s[0:1], s25, v10
	v_cndmask_b32_e64 v10, v12, v11, s[0:1]
	v_add_co_u32_e64 v11, s[0:1], 2, v4
	v_addc_co_u32_e64 v12, s[0:1], 0, v9, s[0:1]
	v_add_co_u32_e64 v13, s[0:1], 1, v4
	v_addc_co_u32_e64 v14, s[0:1], 0, v9, s[0:1]
	v_subb_co_u32_e32 v8, vcc, v6, v8, vcc
	v_cmp_ne_u32_e64 s[0:1], 0, v10
	v_cmp_le_u32_e32 vcc, s25, v8
	v_cndmask_b32_e64 v10, v14, v12, s[0:1]
	v_cndmask_b32_e64 v12, 0, -1, vcc
	v_cmp_le_u32_e32 vcc, s24, v7
	v_cndmask_b32_e64 v7, 0, -1, vcc
	v_cmp_eq_u32_e32 vcc, s25, v8
	v_cndmask_b32_e32 v7, v12, v7, vcc
	v_cmp_ne_u32_e32 vcc, 0, v7
	v_cndmask_b32_e64 v7, v13, v11, s[0:1]
	v_cndmask_b32_e32 v23, v9, v10, vcc
	v_cndmask_b32_e32 v22, v4, v7, vcc
.LBB0_4:                                ;   in Loop: Header=BB0_2 Depth=1
	s_andn2_saveexec_b64 s[0:1], s[26:27]
	s_cbranch_execz .LBB0_6
; %bb.5:                                ;   in Loop: Header=BB0_2 Depth=1
	v_cvt_f32_u32_e32 v4, s24
	s_sub_i32 s26, 0, s24
	v_mov_b32_e32 v23, v3
	v_rcp_iflag_f32_e32 v4, v4
	v_mul_f32_e32 v4, 0x4f7ffffe, v4
	v_cvt_u32_f32_e32 v4, v4
	v_mul_lo_u32 v7, s26, v4
	v_mul_hi_u32 v7, v4, v7
	v_add_u32_e32 v4, v4, v7
	v_mul_hi_u32 v4, v5, v4
	v_mul_lo_u32 v7, v4, s24
	v_add_u32_e32 v8, 1, v4
	v_sub_u32_e32 v7, v5, v7
	v_subrev_u32_e32 v9, s24, v7
	v_cmp_le_u32_e32 vcc, s24, v7
	v_cndmask_b32_e32 v7, v7, v9, vcc
	v_cndmask_b32_e32 v4, v4, v8, vcc
	v_add_u32_e32 v8, 1, v4
	v_cmp_le_u32_e32 vcc, s24, v7
	v_cndmask_b32_e32 v22, v4, v8, vcc
.LBB0_6:                                ;   in Loop: Header=BB0_2 Depth=1
	s_or_b64 exec, exec, s[0:1]
	v_mul_lo_u32 v4, v23, s24
	v_mul_lo_u32 v9, v22, s25
	v_mad_u64_u32 v[7:8], s[0:1], v22, s24, 0
	s_load_dwordx2 s[0:1], s[6:7], 0x0
	s_load_dwordx2 s[24:25], s[2:3], 0x0
	v_add3_u32 v4, v8, v9, v4
	v_sub_co_u32_e32 v5, vcc, v5, v7
	v_subb_co_u32_e32 v4, vcc, v6, v4, vcc
	s_waitcnt lgkmcnt(0)
	v_mul_lo_u32 v6, s0, v4
	v_mul_lo_u32 v7, s1, v5
	v_mad_u64_u32 v[1:2], s[0:1], s0, v5, v[1:2]
	v_mul_lo_u32 v4, s24, v4
	v_mul_lo_u32 v8, s25, v5
	v_mad_u64_u32 v[20:21], s[0:1], s24, v5, v[20:21]
	s_add_u32 s22, s22, 1
	s_addc_u32 s23, s23, 0
	s_add_u32 s2, s2, 8
	v_add3_u32 v21, v8, v21, v4
	s_addc_u32 s3, s3, 0
	v_mov_b32_e32 v4, s14
	s_add_u32 s6, s6, 8
	v_mov_b32_e32 v5, s15
	s_addc_u32 s7, s7, 0
	v_cmp_ge_u64_e32 vcc, s[22:23], v[4:5]
	s_add_u32 s20, s20, 8
	v_add3_u32 v2, v7, v2, v6
	s_addc_u32 s21, s21, 0
	s_cbranch_vccnz .LBB0_9
; %bb.7:                                ;   in Loop: Header=BB0_2 Depth=1
	v_mov_b32_e32 v5, v22
	v_mov_b32_e32 v6, v23
	s_branch .LBB0_2
.LBB0_8:
	v_mov_b32_e32 v21, v2
	v_mov_b32_e32 v23, v6
	;; [unrolled: 1-line block ×4, first 2 shown]
.LBB0_9:
	s_load_dwordx2 s[4:5], s[4:5], 0x28
	s_lshl_b64 s[6:7], s[14:15], 3
	s_add_u32 s2, s18, s6
	s_addc_u32 s3, s19, s7
                                        ; implicit-def: $vgpr24
                                        ; implicit-def: $vgpr3_vgpr4
	s_waitcnt lgkmcnt(0)
	v_cmp_gt_u64_e64 s[0:1], s[4:5], v[22:23]
	v_cmp_le_u64_e32 vcc, s[4:5], v[22:23]
	s_and_saveexec_b64 s[4:5], vcc
	s_xor_b64 s[4:5], exec, s[4:5]
; %bb.10:
	s_mov_b32 s14, 0x14afd6b
	v_mul_hi_u32 v1, v0, s14
	v_mov_b32_e32 v25, 0
	v_mul_u32_u24_e32 v1, 0xc6, v1
	v_sub_u32_e32 v24, v0, v1
	v_mov_b32_e32 v3, v24
	v_mov_b32_e32 v4, v25
                                        ; implicit-def: $vgpr0
                                        ; implicit-def: $vgpr1_vgpr2
; %bb.11:
	s_or_saveexec_b64 s[4:5], s[4:5]
	s_load_dwordx2 s[2:3], s[2:3], 0x0
	s_xor_b64 exec, exec, s[4:5]
	s_cbranch_execz .LBB0_15
; %bb.12:
	s_add_u32 s6, s16, s6
	s_addc_u32 s7, s17, s7
	s_load_dwordx2 s[6:7], s[6:7], 0x0
	s_mov_b32 s14, 0x14afd6b
	v_mul_hi_u32 v5, v0, s14
	v_lshlrev_b64 v[1:2], 3, v[1:2]
	v_mov_b32_e32 v25, 0
	s_waitcnt lgkmcnt(0)
	v_mul_lo_u32 v6, s7, v22
	v_mul_lo_u32 v7, s6, v23
	v_mad_u64_u32 v[3:4], s[6:7], s6, v22, 0
	v_mul_u32_u24_e32 v5, 0xc6, v5
	v_sub_u32_e32 v24, v0, v5
	v_add3_u32 v4, v4, v7, v6
	v_lshlrev_b64 v[3:4], 3, v[3:4]
	v_mov_b32_e32 v0, s9
	v_add_co_u32_e32 v3, vcc, s8, v3
	v_addc_co_u32_e32 v0, vcc, v0, v4, vcc
	v_add_co_u32_e32 v1, vcc, v3, v1
	v_addc_co_u32_e32 v0, vcc, v0, v2, vcc
	v_lshlrev_b32_e32 v30, 3, v24
	v_add_co_u32_e32 v2, vcc, v1, v30
	v_addc_co_u32_e32 v3, vcc, 0, v0, vcc
	s_movk_i32 s6, 0x1000
	v_add_co_u32_e32 v4, vcc, s6, v2
	v_addc_co_u32_e32 v5, vcc, 0, v3, vcc
	s_movk_i32 s6, 0x2000
	v_add_co_u32_e32 v8, vcc, s6, v2
	v_addc_co_u32_e32 v9, vcc, 0, v3, vcc
	global_load_dwordx2 v[6:7], v[4:5], off offset:656
	global_load_dwordx2 v[10:11], v[4:5], off offset:2240
	;; [unrolled: 1-line block ×5, first 2 shown]
	global_load_dwordx2 v[18:19], v[2:3], off
	global_load_dwordx2 v[26:27], v[2:3], off offset:3168
	global_load_dwordx2 v[28:29], v[2:3], off offset:1584
	v_add_co_u32_e32 v2, vcc, 0x3000, v2
	v_addc_co_u32_e32 v3, vcc, 0, v3, vcc
	global_load_dwordx2 v[4:5], v[2:3], off offset:384
	global_load_dwordx2 v[8:9], v[2:3], off offset:1968
	v_add_u32_e32 v2, 0, v30
	v_add_u32_e32 v3, 0xc00, v2
	s_movk_i32 s6, 0xc5
	v_add_u32_e32 v30, 0x1800, v2
	v_add_u32_e32 v31, 0x2400, v2
	;; [unrolled: 1-line block ×3, first 2 shown]
	v_cmp_eq_u32_e32 vcc, s6, v24
	s_waitcnt vmcnt(3)
	ds_write2_b64 v3, v[26:27], v[6:7] offset0:12 offset1:210
	ds_write2_b64 v30, v[10:11], v[12:13] offset0:24 offset1:222
	s_waitcnt vmcnt(2)
	ds_write2_b64 v2, v[18:19], v[28:29] offset1:198
	ds_write2_b64 v31, v[14:15], v[16:17] offset0:36 offset1:234
	s_waitcnt vmcnt(0)
	ds_write2_b64 v32, v[4:5], v[8:9] offset0:48 offset1:246
	v_mov_b32_e32 v3, v24
	v_mov_b32_e32 v4, v25
	s_and_saveexec_b64 s[6:7], vcc
	s_cbranch_execz .LBB0_14
; %bb.13:
	v_add_co_u32_e32 v1, vcc, 0x3000, v1
	v_addc_co_u32_e32 v2, vcc, 0, v0, vcc
	global_load_dwordx2 v[0:1], v[1:2], off offset:3552
	v_mov_b32_e32 v3, 0xc5
	v_mov_b32_e32 v4, 0
	;; [unrolled: 1-line block ×3, first 2 shown]
	s_waitcnt vmcnt(0)
	ds_write_b64 v25, v[0:1] offset:15840
.LBB0_14:
	s_or_b64 exec, exec, s[6:7]
.LBB0_15:
	s_or_b64 exec, exec, s[4:5]
	v_lshlrev_b32_e32 v0, 3, v24
	v_add_u32_e32 v36, 0, v0
	s_waitcnt lgkmcnt(0)
	s_barrier
	v_sub_u32_e32 v2, 0, v0
	ds_read_b32 v5, v36
	ds_read_b32 v6, v2 offset:15840
	s_add_u32 s6, s12, 0x3d88
	v_lshlrev_b64 v[26:27], 3, v[3:4]
	s_addc_u32 s7, s13, 0
	v_cmp_ne_u32_e32 vcc, 0, v24
	s_waitcnt lgkmcnt(0)
	v_add_f32_e32 v0, v6, v5
	v_sub_f32_e32 v1, v5, v6
	s_and_saveexec_b64 s[4:5], vcc
	s_xor_b64 s[4:5], exec, s[4:5]
	s_cbranch_execz .LBB0_17
; %bb.16:
	v_mov_b32_e32 v1, s7
	v_add_co_u32_e32 v0, vcc, s6, v26
	v_addc_co_u32_e32 v1, vcc, v1, v27, vcc
	global_load_dwordx2 v[3:4], v[0:1], off
	ds_read_b32 v0, v2 offset:15844
	ds_read_b32 v1, v36 offset:4
	v_add_f32_e32 v7, v6, v5
	v_sub_f32_e32 v8, v5, v6
	s_waitcnt lgkmcnt(0)
	v_add_f32_e32 v9, v0, v1
	v_sub_f32_e32 v0, v1, v0
	s_waitcnt vmcnt(0)
	v_fma_f32 v5, -v8, v4, v7
	v_fma_f32 v6, v9, v4, -v0
	v_fma_f32 v10, v8, v4, v7
	v_fma_f32 v1, v9, v4, v0
	v_fmac_f32_e32 v5, v3, v9
	v_fmac_f32_e32 v6, v8, v3
	v_fma_f32 v0, -v3, v9, v10
	v_fmac_f32_e32 v1, v8, v3
	ds_write_b64 v2, v[5:6] offset:15840
.LBB0_17:
	s_andn2_saveexec_b64 s[4:5], s[4:5]
	s_cbranch_execz .LBB0_19
; %bb.18:
	v_mov_b32_e32 v5, 0
	ds_read_b64 v[3:4], v5 offset:7920
	s_waitcnt lgkmcnt(0)
	v_add_f32_e32 v3, v3, v3
	v_mul_f32_e32 v4, -2.0, v4
	ds_write_b64 v5, v[3:4] offset:7920
.LBB0_19:
	s_or_b64 exec, exec, s[4:5]
	v_mov_b32_e32 v25, 0
	v_lshlrev_b64 v[28:29], 3, v[24:25]
	v_mov_b32_e32 v4, s7
	v_add_co_u32_e32 v3, vcc, s6, v28
	v_addc_co_u32_e32 v4, vcc, v4, v29, vcc
	global_load_dwordx2 v[5:6], v[3:4], off offset:1584
	global_load_dwordx2 v[7:8], v[3:4], off offset:3168
	s_movk_i32 s4, 0x1000
	v_add_co_u32_e32 v3, vcc, s4, v3
	v_addc_co_u32_e32 v4, vcc, 0, v4, vcc
	global_load_dwordx2 v[9:10], v[3:4], off offset:656
	global_load_dwordx2 v[11:12], v[3:4], off offset:2240
	ds_write_b64 v36, v[0:1]
	ds_read_b64 v[0:1], v36 offset:1584
	ds_read_b64 v[3:4], v2 offset:14256
	s_mov_b32 s6, 0x3f575c64
	s_mov_b32 s7, 0x3ed4b147
	;; [unrolled: 1-line block ×4, first 2 shown]
	s_waitcnt lgkmcnt(0)
	v_add_f32_e32 v13, v0, v3
	v_add_f32_e32 v14, v4, v1
	v_sub_f32_e32 v15, v0, v3
	v_sub_f32_e32 v3, v1, v4
	s_mov_b32 s14, 0xbf75a155
	s_movk_i32 s4, 0xb4
	v_cmp_gt_u32_e32 vcc, s4, v24
	s_waitcnt vmcnt(3)
	v_fma_f32 v16, v15, v6, v13
	v_fma_f32 v4, v14, v6, v3
	v_fma_f32 v0, -v15, v6, v13
	v_fma_f32 v1, v14, v6, -v3
	v_fma_f32 v3, -v5, v14, v16
	v_fmac_f32_e32 v4, v15, v5
	v_fmac_f32_e32 v0, v5, v14
	;; [unrolled: 1-line block ×3, first 2 shown]
	ds_write_b64 v36, v[3:4] offset:1584
	ds_write_b64 v2, v[0:1] offset:14256
	ds_read_b64 v[0:1], v36 offset:3168
	ds_read_b64 v[3:4], v2 offset:12672
	s_waitcnt lgkmcnt(0)
	v_add_f32_e32 v5, v0, v3
	v_add_f32_e32 v6, v4, v1
	v_sub_f32_e32 v13, v0, v3
	v_sub_f32_e32 v0, v1, v4
	s_waitcnt vmcnt(2)
	v_fma_f32 v14, v13, v8, v5
	v_fma_f32 v1, v6, v8, v0
	v_fma_f32 v3, -v13, v8, v5
	v_fma_f32 v4, v6, v8, -v0
	v_fma_f32 v0, -v7, v6, v14
	v_fmac_f32_e32 v1, v13, v7
	v_fmac_f32_e32 v3, v7, v6
	;; [unrolled: 1-line block ×3, first 2 shown]
	ds_write_b64 v36, v[0:1] offset:3168
	ds_write_b64 v2, v[3:4] offset:12672
	ds_read_b64 v[0:1], v36 offset:4752
	ds_read_b64 v[3:4], v2 offset:11088
	s_waitcnt lgkmcnt(0)
	v_add_f32_e32 v5, v0, v3
	v_add_f32_e32 v6, v4, v1
	v_sub_f32_e32 v7, v0, v3
	v_sub_f32_e32 v0, v1, v4
	s_waitcnt vmcnt(1)
	v_fma_f32 v8, v7, v10, v5
	v_fma_f32 v1, v6, v10, v0
	v_fma_f32 v3, -v7, v10, v5
	v_fma_f32 v4, v6, v10, -v0
	v_fma_f32 v0, -v9, v6, v8
	v_fmac_f32_e32 v1, v7, v9
	v_fmac_f32_e32 v3, v9, v6
	;; [unrolled: 1-line block ×3, first 2 shown]
	ds_write_b64 v36, v[0:1] offset:4752
	ds_write_b64 v2, v[3:4] offset:11088
	ds_read_b64 v[0:1], v36 offset:6336
	ds_read_b64 v[3:4], v2 offset:9504
	v_add_u32_e32 v5, 0xa00, v36
	v_add_u32_e32 v6, 0x2c00, v36
	s_waitcnt lgkmcnt(0)
	v_add_f32_e32 v7, v0, v3
	v_add_f32_e32 v8, v4, v1
	v_sub_f32_e32 v9, v0, v3
	v_sub_f32_e32 v0, v1, v4
	s_waitcnt vmcnt(0)
	v_fma_f32 v10, v9, v12, v7
	v_fma_f32 v1, v8, v12, v0
	v_fma_f32 v3, -v9, v12, v7
	v_fma_f32 v4, v8, v12, -v0
	v_fma_f32 v0, -v11, v8, v10
	v_fmac_f32_e32 v1, v9, v11
	v_fmac_f32_e32 v3, v11, v8
	;; [unrolled: 1-line block ×3, first 2 shown]
	ds_write_b64 v36, v[0:1] offset:6336
	ds_write_b64 v2, v[3:4] offset:9504
	s_waitcnt lgkmcnt(0)
	s_barrier
	s_barrier
	ds_read2_b64 v[0:3], v36 offset1:180
	ds_read_b64 v[34:35], v36 offset:14400
	ds_read2_b64 v[8:11], v5 offset0:40 offset1:220
	ds_read2_b64 v[4:7], v6 offset0:32 offset1:212
	s_waitcnt lgkmcnt(2)
	v_sub_f32_e32 v52, v3, v35
	v_add_f32_e32 v58, v35, v3
	v_add_f32_e32 v25, v34, v2
	s_waitcnt lgkmcnt(0)
	v_sub_f32_e32 v51, v9, v7
	v_add_f32_e32 v56, v7, v9
	v_mul_f32_e32 v48, 0xbf0a6770, v52
	v_mul_f32_e32 v50, 0x3f575c64, v58
	v_add_f32_e32 v37, v6, v8
	v_sub_f32_e32 v40, v2, v34
	v_sub_f32_e32 v53, v11, v5
	v_mul_f32_e32 v47, 0xbf68dda4, v51
	v_mul_f32_e32 v49, 0x3ed4b147, v56
	v_fma_f32 v12, v25, s6, -v48
	v_mov_b32_e32 v14, v50
	v_sub_f32_e32 v39, v8, v6
	v_add_f32_e32 v38, v4, v10
	v_mul_f32_e32 v46, 0xbf7d64f0, v53
	v_fma_f32 v13, v37, s7, -v47
	v_mov_b32_e32 v15, v49
	v_add_f32_e32 v12, v0, v12
	v_fmac_f32_e32 v14, 0xbf0a6770, v40
	v_fma_f32 v16, v38, s8, -v46
	v_fmac_f32_e32 v15, 0xbf68dda4, v39
	v_add_f32_e32 v12, v13, v12
	v_add_f32_e32 v13, v1, v14
	;; [unrolled: 1-line block ×4, first 2 shown]
	v_add_u32_e32 v12, 0x1600, v36
	v_add_u32_e32 v13, 0x2000, v36
	ds_read2_b64 v[16:19], v12 offset0:16 offset1:196
	ds_read2_b64 v[12:15], v13 offset0:56 offset1:236
	v_add_f32_e32 v59, v5, v11
	v_mul_f32_e32 v54, 0xbe11bafb, v59
	v_sub_f32_e32 v41, v10, v4
	v_mov_b32_e32 v32, v54
	s_waitcnt lgkmcnt(0)
	v_sub_f32_e32 v62, v17, v15
	v_fmac_f32_e32 v32, 0xbf7d64f0, v41
	v_add_f32_e32 v42, v14, v16
	v_mul_f32_e32 v55, 0xbf4178ce, v62
	v_add_f32_e32 v65, v15, v17
	v_add_f32_e32 v30, v32, v30
	v_fma_f32 v32, v42, s9, -v55
	v_mul_f32_e32 v60, 0xbf27a4f4, v65
	v_add_f32_e32 v31, v32, v31
	v_sub_f32_e32 v44, v16, v14
	v_mov_b32_e32 v32, v60
	v_sub_f32_e32 v63, v19, v13
	v_fmac_f32_e32 v32, 0xbf4178ce, v44
	v_add_f32_e32 v43, v12, v18
	v_mul_f32_e32 v57, 0xbe903f40, v63
	v_add_f32_e32 v64, v13, v19
	v_add_f32_e32 v32, v32, v30
	v_fma_f32 v30, v43, s14, -v57
	v_mul_f32_e32 v61, 0xbf75a155, v64
	v_add_f32_e32 v30, v30, v31
	v_sub_f32_e32 v45, v18, v12
	v_mov_b32_e32 v31, v61
	v_fmac_f32_e32 v31, 0xbe903f40, v45
	v_add_f32_e32 v31, v31, v32
	s_barrier
	s_and_saveexec_b64 s[4:5], vcc
	s_cbranch_execz .LBB0_21
; %bb.20:
	v_mul_f32_e32 v66, 0xbf75a155, v58
	v_mov_b32_e32 v32, v66
	v_mul_f32_e32 v67, 0x3f575c64, v56
	v_fmac_f32_e32 v32, 0x3e903f40, v40
	v_mov_b32_e32 v33, v67
	v_add_f32_e32 v32, v1, v32
	v_fmac_f32_e32 v33, 0xbf0a6770, v39
	v_mul_f32_e32 v68, 0xbf27a4f4, v59
	v_add_f32_e32 v32, v33, v32
	v_mov_b32_e32 v33, v68
	v_fmac_f32_e32 v33, 0x3f4178ce, v41
	v_mul_f32_e32 v69, 0x3ed4b147, v65
	v_add_f32_e32 v32, v33, v32
	v_mov_b32_e32 v33, v69
	v_fmac_f32_e32 v33, 0xbf68dda4, v44
	v_mul_f32_e32 v70, 0xbe11bafb, v64
	v_add_f32_e32 v32, v33, v32
	v_mov_b32_e32 v33, v70
	v_fmac_f32_e32 v33, 0x3f7d64f0, v45
	v_mul_f32_e32 v71, 0xbe903f40, v52
	v_add_f32_e32 v33, v33, v32
	v_mov_b32_e32 v32, v71
	v_mul_f32_e32 v72, 0x3f0a6770, v51
	v_fmac_f32_e32 v32, 0xbf75a155, v25
	v_mov_b32_e32 v73, v72
	v_add_f32_e32 v32, v0, v32
	v_fmac_f32_e32 v73, 0x3f575c64, v37
	v_add_f32_e32 v32, v73, v32
	v_mul_f32_e32 v73, 0xbf4178ce, v53
	v_mov_b32_e32 v74, v73
	v_fmac_f32_e32 v74, 0xbf27a4f4, v38
	v_add_f32_e32 v32, v74, v32
	v_mul_f32_e32 v74, 0x3f68dda4, v62
	v_mov_b32_e32 v75, v74
	v_fmac_f32_e32 v75, 0x3ed4b147, v42
	v_add_f32_e32 v32, v75, v32
	v_mul_f32_e32 v75, 0xbf7d64f0, v63
	v_mov_b32_e32 v76, v75
	v_fmac_f32_e32 v76, 0xbe11bafb, v43
	v_add_f32_e32 v32, v76, v32
	v_mul_f32_e32 v76, 0xbf27a4f4, v58
	v_mov_b32_e32 v77, v76
	v_add_f32_e32 v2, v0, v2
	v_mul_f32_e32 v78, 0xbe11bafb, v56
	v_fmac_f32_e32 v77, 0x3f4178ce, v40
	v_add_f32_e32 v2, v2, v8
	v_mov_b32_e32 v8, v78
	v_add_f32_e32 v77, v1, v77
	v_fmac_f32_e32 v8, 0xbf7d64f0, v39
	v_add_f32_e32 v3, v1, v3
	v_add_f32_e32 v8, v8, v77
	v_mul_f32_e32 v77, 0x3f575c64, v59
	v_add_f32_e32 v3, v3, v9
	v_mov_b32_e32 v9, v77
	v_fmac_f32_e32 v9, 0x3f0a6770, v41
	v_mul_f32_e32 v79, 0xbf75a155, v65
	v_add_f32_e32 v3, v3, v11
	v_add_f32_e32 v2, v2, v10
	;; [unrolled: 1-line block ×3, first 2 shown]
	v_mov_b32_e32 v9, v79
	v_fmac_f32_e32 v9, 0x3e903f40, v44
	v_add_f32_e32 v3, v3, v17
	v_add_f32_e32 v2, v2, v16
	v_mul_f32_e32 v16, 0xbf4178ce, v52
	v_add_f32_e32 v8, v9, v8
	v_add_f32_e32 v9, v3, v19
	v_mov_b32_e32 v3, v16
	v_mul_f32_e32 v17, 0x3f7d64f0, v51
	v_fmac_f32_e32 v3, 0xbf27a4f4, v25
	v_mov_b32_e32 v10, v17
	v_mul_f32_e32 v80, 0x3ed4b147, v64
	v_add_f32_e32 v3, v0, v3
	v_fmac_f32_e32 v10, 0xbe11bafb, v37
	v_add_f32_e32 v2, v2, v18
	v_add_f32_e32 v10, v10, v3
	v_mov_b32_e32 v3, v80
	v_fmac_f32_e32 v3, 0xbf68dda4, v45
	v_add_f32_e32 v2, v2, v12
	v_add_f32_e32 v3, v3, v8
	;; [unrolled: 1-line block ×4, first 2 shown]
	v_mul_f32_e32 v14, 0xbf0a6770, v53
	v_mov_b32_e32 v2, v14
	v_fmac_f32_e32 v2, 0x3f575c64, v38
	v_mul_f32_e32 v18, 0xbe903f40, v62
	v_add_f32_e32 v2, v2, v10
	v_mov_b32_e32 v10, v18
	v_fmac_f32_e32 v10, 0xbf75a155, v42
	v_mul_f32_e32 v19, 0x3f68dda4, v63
	v_add_f32_e32 v2, v10, v2
	;; [unrolled: 4-line block ×3, first 2 shown]
	v_add_f32_e32 v2, v10, v2
	v_mov_b32_e32 v10, v81
	v_add_f32_e32 v4, v9, v4
	v_mul_f32_e32 v82, 0xbf75a155, v56
	v_fmac_f32_e32 v10, 0x3f7d64f0, v40
	v_add_f32_e32 v5, v8, v5
	v_add_f32_e32 v4, v4, v6
	v_mov_b32_e32 v6, v82
	v_mul_f32_e32 v83, 0x3ed4b147, v59
	v_add_f32_e32 v10, v1, v10
	v_add_f32_e32 v5, v5, v7
	v_fmac_f32_e32 v6, 0xbe903f40, v39
	v_mov_b32_e32 v7, v83
	v_add_f32_e32 v6, v6, v10
	v_fmac_f32_e32 v7, 0xbf68dda4, v41
	v_mul_f32_e32 v84, 0x3f575c64, v65
	v_add_f32_e32 v6, v7, v6
	v_mov_b32_e32 v7, v84
	v_fmac_f32_e32 v7, 0x3f0a6770, v44
	v_add_f32_e32 v4, v4, v34
	v_mul_f32_e32 v34, 0xbf7d64f0, v52
	v_add_f32_e32 v6, v7, v6
	v_add_f32_e32 v5, v5, v35
	v_mov_b32_e32 v7, v34
	v_mul_f32_e32 v35, 0x3e903f40, v51
	v_fmac_f32_e32 v7, 0xbe11bafb, v25
	v_mov_b32_e32 v8, v35
	v_add_f32_e32 v7, v0, v7
	v_fmac_f32_e32 v8, 0xbf75a155, v37
	v_mul_f32_e32 v85, 0x3f68dda4, v53
	v_add_f32_e32 v7, v8, v7
	v_mov_b32_e32 v8, v85
	v_fmac_f32_e32 v8, 0x3ed4b147, v38
	v_mul_f32_e32 v86, 0xbf0a6770, v62
	v_add_f32_e32 v7, v8, v7
	v_mov_b32_e32 v8, v86
	;; [unrolled: 4-line block ×5, first 2 shown]
	v_mul_f32_e32 v56, 0xbf27a4f4, v56
	v_fmac_f32_e32 v8, 0x3f68dda4, v40
	v_mov_b32_e32 v9, v56
	v_add_f32_e32 v8, v1, v8
	v_fmac_f32_e32 v9, 0x3f4178ce, v39
	v_mul_f32_e32 v59, 0xbf75a155, v59
	v_add_f32_e32 v8, v9, v8
	v_mov_b32_e32 v9, v59
	v_fmac_f32_e32 v9, 0xbe903f40, v41
	v_mul_f32_e32 v65, 0xbe11bafb, v65
	v_add_f32_e32 v8, v9, v8
	v_mov_b32_e32 v9, v65
	;; [unrolled: 4-line block ×3, first 2 shown]
	v_mul_f32_e32 v51, 0xbf4178ce, v51
	v_fmac_f32_e32 v9, 0x3ed4b147, v25
	v_mov_b32_e32 v10, v51
	v_add_f32_e32 v9, v0, v9
	v_fmac_f32_e32 v10, 0xbf27a4f4, v37
	v_mul_f32_e32 v53, 0x3e903f40, v53
	v_add_f32_e32 v9, v10, v9
	v_mov_b32_e32 v10, v53
	v_fmac_f32_e32 v10, 0xbf75a155, v38
	v_mul_f32_e32 v62, 0x3f7d64f0, v62
	v_add_f32_e32 v9, v10, v9
	v_mov_b32_e32 v10, v62
	;; [unrolled: 4-line block ×4, first 2 shown]
	v_fmac_f32_e32 v8, 0x3f575c64, v43
	v_add_f32_e32 v8, v8, v10
	v_mul_f32_e32 v10, 0xbf0a6770, v40
	v_mul_f32_e32 v12, 0x3f575c64, v25
	v_sub_f32_e32 v10, v50, v10
	v_mul_f32_e32 v11, 0xbf68dda4, v39
	v_add_f32_e32 v12, v12, v48
	v_mul_f32_e32 v13, 0x3ed4b147, v37
	v_sub_f32_e32 v11, v49, v11
	v_add_f32_e32 v10, v1, v10
	v_add_f32_e32 v13, v13, v47
	;; [unrolled: 1-line block ×3, first 2 shown]
	v_fma_f32 v16, v25, s9, -v16
	v_add_f32_e32 v10, v11, v10
	v_mul_f32_e32 v11, 0xbf7d64f0, v41
	v_add_f32_e32 v12, v13, v12
	v_mul_f32_e32 v13, 0xbe11bafb, v38
	v_add_f32_e32 v16, v0, v16
	v_fma_f32 v17, v37, s8, -v17
	v_sub_f32_e32 v11, v54, v11
	v_add_f32_e32 v13, v13, v46
	v_add_f32_e32 v16, v17, v16
	v_fma_f32 v14, v38, s6, -v14
	v_add_f32_e32 v10, v11, v10
	v_mul_f32_e32 v11, 0xbf4178ce, v44
	v_add_f32_e32 v12, v13, v12
	v_mul_f32_e32 v13, 0xbf27a4f4, v42
	v_add_f32_e32 v14, v14, v16
	v_fma_f32 v16, v42, s14, -v18
	v_sub_f32_e32 v11, v60, v11
	v_add_f32_e32 v13, v13, v55
	v_add_f32_e32 v14, v16, v14
	v_fma_f32 v16, v43, s7, -v19
	v_fmac_f32_e32 v81, 0xbf7d64f0, v40
	v_add_f32_e32 v10, v11, v10
	v_mul_f32_e32 v11, 0xbe903f40, v45
	v_add_f32_e32 v12, v13, v12
	v_mul_f32_e32 v13, 0xbf75a155, v43
	v_add_f32_e32 v14, v16, v14
	v_add_f32_e32 v16, v1, v81
	v_fmac_f32_e32 v82, 0x3e903f40, v39
	v_sub_f32_e32 v11, v61, v11
	v_add_f32_e32 v13, v13, v57
	v_fmac_f32_e32 v66, 0xbe903f40, v40
	v_add_f32_e32 v16, v82, v16
	v_fmac_f32_e32 v83, 0x3f68dda4, v41
	v_add_f32_e32 v11, v11, v10
	v_add_f32_e32 v10, v13, v12
	;; [unrolled: 1-line block ×3, first 2 shown]
	v_fmac_f32_e32 v67, 0x3f0a6770, v39
	v_add_f32_e32 v16, v83, v16
	v_fmac_f32_e32 v84, 0xbf0a6770, v44
	v_add_f32_e32 v12, v67, v12
	v_fmac_f32_e32 v68, 0xbf4178ce, v41
	v_add_f32_e32 v16, v84, v16
	v_fmac_f32_e32 v87, 0xbf4178ce, v45
	v_add_f32_e32 v12, v68, v12
	v_fmac_f32_e32 v69, 0x3f68dda4, v44
	v_add_f32_e32 v17, v87, v16
	v_fma_f32 v16, v25, s8, -v34
	v_add_f32_e32 v12, v69, v12
	v_fmac_f32_e32 v70, 0xbf7d64f0, v45
	v_add_f32_e32 v16, v0, v16
	v_fma_f32 v18, v37, s14, -v35
	v_add_f32_e32 v13, v70, v12
	v_fma_f32 v12, v25, s14, -v71
	;; [unrolled: 2-line block ×10, first 2 shown]
	v_fmac_f32_e32 v76, 0xbf4178ce, v40
	v_fmac_f32_e32 v58, 0xbf68dda4, v40
	v_add_f32_e32 v0, v0, v18
	v_fma_f32 v18, v37, s9, -v51
	v_add_f32_e32 v12, v15, v12
	v_add_f32_e32 v15, v1, v76
	v_fmac_f32_e32 v78, 0x3f7d64f0, v39
	v_add_f32_e32 v1, v1, v58
	v_fmac_f32_e32 v56, 0xbf4178ce, v39
	v_add_f32_e32 v0, v18, v0
	v_fma_f32 v18, v38, s14, -v53
	v_add_f32_e32 v15, v78, v15
	v_fmac_f32_e32 v77, 0xbf0a6770, v41
	v_add_f32_e32 v1, v56, v1
	v_fmac_f32_e32 v59, 0x3e903f40, v41
	v_add_f32_e32 v0, v18, v0
	v_fma_f32 v18, v42, s8, -v62
	;; [unrolled: 6-line block ×3, first 2 shown]
	s_movk_i32 s6, 0x50
	v_add_f32_e32 v15, v79, v15
	v_fmac_f32_e32 v80, 0x3f68dda4, v45
	v_add_f32_e32 v1, v65, v1
	v_fmac_f32_e32 v64, 0x3f0a6770, v45
	v_add_f32_e32 v0, v18, v0
	v_mad_u32_u24 v18, v24, s6, v36
	v_add_f32_e32 v15, v80, v15
	v_add_f32_e32 v1, v64, v1
	ds_write2_b64 v18, v[4:5], v[10:11] offset1:1
	ds_write2_b64 v18, v[8:9], v[6:7] offset0:2 offset1:3
	ds_write2_b64 v18, v[2:3], v[32:33] offset0:4 offset1:5
	;; [unrolled: 1-line block ×4, first 2 shown]
	ds_write_b64 v18, v[30:31] offset:80
.LBB0_21:
	s_or_b64 exec, exec, s[4:5]
	s_movk_i32 s4, 0x75
	v_mul_lo_u16_sdwa v1, v24, s4 dst_sel:DWORD dst_unused:UNUSED_PAD src0_sel:BYTE_0 src1_sel:DWORD
	v_sub_u16_sdwa v2, v24, v1 dst_sel:DWORD dst_unused:UNUSED_PAD src0_sel:DWORD src1_sel:BYTE_1
	v_lshrrev_b16_e32 v2, 1, v2
	v_and_b32_e32 v2, 0x7f, v2
	v_add_u16_sdwa v1, v2, v1 dst_sel:DWORD dst_unused:UNUSED_PAD src0_sel:DWORD src1_sel:BYTE_1
	v_add_u32_e32 v35, 0xc6, v24
	v_lshrrev_b16_e32 v49, 3, v1
	s_mov_b32 s4, 0xba2f
	v_mul_lo_u16_e32 v1, 11, v49
	v_mul_u32_u24_sdwa v38, v35, s4 dst_sel:DWORD dst_unused:UNUSED_PAD src0_sel:WORD_0 src1_sel:DWORD
	v_sub_u16_e32 v1, v24, v1
	v_mov_b32_e32 v37, 3
	v_lshrrev_b32_e32 v51, 19, v38
	v_lshlrev_b32_sdwa v50, v37, v1 dst_sel:DWORD dst_unused:UNUSED_PAD src0_sel:DWORD src1_sel:BYTE_0
	v_mul_lo_u16_e32 v1, 11, v51
	v_add_u32_e32 v0, 0x318, v24
	v_sub_u16_e32 v1, v35, v1
	v_lshlrev_b32_e32 v52, 3, v1
	v_mul_u32_u24_sdwa v1, v0, s4 dst_sel:DWORD dst_unused:UNUSED_PAD src0_sel:WORD_0 src1_sel:DWORD
	v_add_u32_e32 v34, 0x18c, v24
	v_lshrrev_b32_e32 v53, 19, v1
	v_mul_lo_u16_e32 v1, 11, v53
	v_mul_u32_u24_sdwa v40, v34, s4 dst_sel:DWORD dst_unused:UNUSED_PAD src0_sel:WORD_0 src1_sel:DWORD
	v_add_u32_e32 v25, 0x252, v24
	v_sub_u16_e32 v0, v0, v1
	v_lshrrev_b32_e32 v55, 19, v40
	v_lshlrev_b32_e32 v54, 3, v0
	v_mul_lo_u16_e32 v0, 11, v55
	v_mul_u32_u24_sdwa v39, v25, s4 dst_sel:DWORD dst_unused:UNUSED_PAD src0_sel:WORD_0 src1_sel:DWORD
	s_waitcnt lgkmcnt(0)
	s_barrier
	global_load_dwordx2 v[12:13], v54, s[12:13]
	v_sub_u16_e32 v0, v34, v0
	v_lshrrev_b32_e32 v57, 19, v39
	v_lshlrev_b32_e32 v56, 3, v0
	global_load_dwordx2 v[45:46], v56, s[12:13]
	v_mul_lo_u16_e32 v0, 11, v57
	v_sub_u16_e32 v0, v25, v0
	global_load_dwordx2 v[18:19], v50, s[12:13]
	global_load_dwordx2 v[32:33], v52, s[12:13]
	v_lshlrev_b32_e32 v58, 3, v0
	global_load_dwordx2 v[47:48], v58, s[12:13]
	v_add_u32_e32 v8, 0x1800, v36
	v_add_u32_e32 v14, 0x2400, v36
	;; [unrolled: 1-line block ×4, first 2 shown]
	ds_read2_b64 v[0:3], v36 offset1:198
	ds_read2_b64 v[4:7], v4 offset0:48 offset1:246
	ds_read2_b64 v[8:11], v8 offset0:24 offset1:222
	;; [unrolled: 1-line block ×4, first 2 shown]
	s_waitcnt vmcnt(0) lgkmcnt(0)
	s_barrier
	s_movk_i32 s4, 0x42
	v_cmp_gt_u32_e32 vcc, s4, v24
	v_mul_f32_e32 v59, v13, v7
	v_mul_f32_e32 v13, v13, v6
	v_fmac_f32_e32 v59, v12, v6
	v_fma_f32 v6, v12, v7, -v13
	v_sub_f32_e32 v12, v8, v59
	v_sub_f32_e32 v13, v9, v6
	v_fma_f32 v6, v8, 2.0, -v12
	v_fma_f32 v7, v9, 2.0, -v13
	v_mul_f32_e32 v8, v19, v11
	v_mul_f32_e32 v9, v19, v10
	;; [unrolled: 1-line block ×6, first 2 shown]
	v_fmac_f32_e32 v8, v18, v10
	v_fma_f32 v9, v18, v11, -v9
	v_fmac_f32_e32 v19, v32, v14
	v_fma_f32 v10, v32, v15, -v33
	;; [unrolled: 2-line block ×3, first 2 shown]
	v_sub_f32_e32 v4, v0, v8
	v_sub_f32_e32 v5, v1, v9
	v_mul_u32_u24_e32 v32, 0xb0, v49
	v_fma_f32 v0, v0, 2.0, -v4
	v_fma_f32 v1, v1, 2.0, -v5
	v_add3_u32 v32, 0, v32, v50
	v_mul_f32_e32 v59, v46, v17
	v_mul_f32_e32 v46, v46, v16
	v_sub_f32_e32 v8, v2, v19
	v_sub_f32_e32 v9, v3, v10
	ds_write2_b64 v32, v[0:1], v[4:5] offset1:11
	v_mul_u32_u24_e32 v0, 0xb0, v51
	v_fmac_f32_e32 v59, v45, v16
	v_fma_f32 v11, v45, v17, -v46
	v_fma_f32 v2, v2, 2.0, -v8
	v_fma_f32 v3, v3, 2.0, -v9
	v_add3_u32 v0, 0, v0, v52
	v_sub_f32_e32 v10, v41, v59
	v_sub_f32_e32 v11, v42, v11
	ds_write2_b64 v0, v[2:3], v[8:9] offset1:11
	v_mul_u32_u24_e32 v0, 0xb0, v55
	v_fma_f32 v16, v41, 2.0, -v10
	v_fma_f32 v17, v42, 2.0, -v11
	v_add3_u32 v0, 0, v0, v56
	v_sub_f32_e32 v14, v43, v60
	v_sub_f32_e32 v15, v44, v15
	ds_write2_b64 v0, v[16:17], v[10:11] offset1:11
	v_mul_u32_u24_e32 v0, 0xb0, v57
	v_fma_f32 v18, v43, 2.0, -v14
	v_fma_f32 v19, v44, 2.0, -v15
	v_add3_u32 v0, 0, v0, v58
	ds_write2_b64 v0, v[18:19], v[14:15] offset1:11
	v_mul_u32_u24_e32 v0, 0xb0, v53
	v_add3_u32 v0, 0, v0, v54
	v_add_u32_e32 v4, 0x1400, v36
	v_add_u32_e32 v8, 0x2800, v36
	ds_write2_b64 v0, v[6:7], v[12:13] offset1:11
	s_waitcnt lgkmcnt(0)
	s_barrier
	ds_read2_b64 v[0:3], v36 offset1:198
	ds_read2_b64 v[4:7], v4 offset0:20 offset1:218
	ds_read2_b64 v[8:11], v8 offset0:40 offset1:238
	ds_read_b64 v[18:19], v36 offset:3168
	ds_read_b64 v[16:17], v36 offset:8448
	;; [unrolled: 1-line block ×3, first 2 shown]
                                        ; implicit-def: $vgpr33
	s_and_saveexec_b64 s[4:5], vcc
	s_cbranch_execz .LBB0_23
; %bb.22:
	ds_read_b64 v[12:13], v36 offset:4752
	ds_read_b64 v[30:31], v36 offset:10032
	;; [unrolled: 1-line block ×3, first 2 shown]
.LBB0_23:
	s_or_b64 exec, exec, s[4:5]
	v_lshrrev_b16_e32 v49, 1, v24
	v_and_b32_e32 v49, 0x7f, v49
	v_mul_lo_u16_e32 v49, 0xbb, v49
	v_lshrrev_b32_e32 v57, 20, v40
	v_lshrrev_b16_e32 v59, 11, v49
	v_mul_lo_u16_e32 v40, 22, v57
	v_mul_lo_u16_e32 v49, 22, v59
	v_sub_u16_e32 v58, v34, v40
	v_mov_b32_e32 v50, 4
	v_sub_u16_e32 v60, v24, v49
	v_lshlrev_b32_e32 v40, 4, v58
	v_lshrrev_b32_e32 v39, 20, v39
	v_lshlrev_b32_sdwa v49, v50, v60 dst_sel:DWORD dst_unused:UNUSED_PAD src0_sel:DWORD src1_sel:BYTE_0
	global_load_dwordx4 v[41:44], v40, s[12:13] offset:88
	v_lshrrev_b32_e32 v38, 20, v38
	global_load_dwordx4 v[49:52], v49, s[12:13] offset:88
	v_mul_lo_u16_e32 v40, 22, v39
	v_sub_u16_e32 v40, v25, v40
	v_lshlrev_b32_e32 v45, 4, v40
	global_load_dwordx4 v[45:48], v45, s[12:13] offset:88
	v_mul_lo_u16_e32 v53, 22, v38
	v_sub_u16_e32 v61, v35, v53
	v_lshlrev_b32_e32 v53, 4, v61
	global_load_dwordx4 v[53:56], v53, s[12:13] offset:88
	v_lshlrev_b32_sdwa v37, v37, v60 dst_sel:DWORD dst_unused:UNUSED_PAD src0_sel:DWORD src1_sel:BYTE_0
	s_waitcnt vmcnt(0) lgkmcnt(0)
	s_barrier
	v_mul_f32_e32 v63, v44, v15
	v_mul_f32_e32 v44, v44, v14
	;; [unrolled: 1-line block ×4, first 2 shown]
	v_fmac_f32_e32 v63, v43, v14
	v_fma_f32 v14, v43, v15, -v44
	v_mul_f32_e32 v65, v33, v48
	v_mul_f32_e32 v48, v32, v48
	v_fmac_f32_e32 v65, v32, v47
	v_mul_f32_e32 v32, v50, v5
	v_mul_f32_e32 v43, v52, v9
	;; [unrolled: 1-line block ×4, first 2 shown]
	v_fmac_f32_e32 v62, v41, v16
	v_fma_f32 v16, v41, v17, -v42
	v_mul_f32_e32 v42, v50, v4
	v_mul_f32_e32 v44, v52, v8
	v_fmac_f32_e32 v32, v49, v4
	v_fmac_f32_e32 v43, v51, v8
	;; [unrolled: 1-line block ×3, first 2 shown]
	v_fma_f32 v17, v31, v45, -v46
	v_fma_f32 v41, v33, v47, -v48
	v_mul_f32_e32 v45, v54, v7
	v_mul_f32_e32 v46, v54, v6
	;; [unrolled: 1-line block ×3, first 2 shown]
	v_fma_f32 v4, v49, v5, -v42
	v_fma_f32 v5, v51, v9, -v44
	v_add_f32_e32 v9, v32, v43
	v_add_f32_e32 v15, v18, v62
	v_mul_f32_e32 v47, v56, v11
	v_fmac_f32_e32 v45, v53, v6
	v_fma_f32 v6, v53, v7, -v46
	v_fma_f32 v7, v55, v11, -v48
	v_add_f32_e32 v8, v0, v32
	v_add_f32_e32 v11, v4, v5
	v_fma_f32 v0, -0.5, v9, v0
	v_add_f32_e32 v31, v62, v63
	v_add_f32_e32 v30, v15, v63
	v_fmac_f32_e32 v47, v55, v10
	v_sub_f32_e32 v15, v4, v5
	v_add_f32_e32 v10, v1, v4
	v_add_f32_e32 v4, v8, v43
	v_fma_f32 v1, -0.5, v11, v1
	v_mov_b32_e32 v8, v0
	v_fma_f32 v18, -0.5, v31, v18
	v_sub_f32_e32 v31, v32, v43
	v_fmac_f32_e32 v0, 0x3f5db3d7, v15
	v_mov_b32_e32 v9, v1
	v_fmac_f32_e32 v8, 0xbf5db3d7, v15
	v_add_f32_e32 v15, v19, v16
	v_sub_f32_e32 v33, v16, v14
	v_add_f32_e32 v32, v2, v45
	v_fmac_f32_e32 v1, 0xbf5db3d7, v31
	v_fmac_f32_e32 v9, 0x3f5db3d7, v31
	v_add_f32_e32 v31, v15, v14
	v_add_f32_e32 v14, v16, v14
	v_sub_f32_e32 v44, v6, v7
	v_add_f32_e32 v46, v3, v6
	v_add_f32_e32 v48, v6, v7
	v_add_f32_e32 v6, v32, v47
	v_mov_b32_e32 v32, v18
	v_fmac_f32_e32 v19, -0.5, v14
	v_fmac_f32_e32 v32, 0xbf5db3d7, v33
	v_fmac_f32_e32 v18, 0x3f5db3d7, v33
	v_sub_f32_e32 v14, v62, v63
	v_mov_b32_e32 v33, v19
	v_add_f32_e32 v15, v64, v65
	v_fmac_f32_e32 v33, 0x3f5db3d7, v14
	v_fmac_f32_e32 v19, 0xbf5db3d7, v14
	v_add_f32_e32 v14, v12, v64
	v_fmac_f32_e32 v12, -0.5, v15
	v_sub_f32_e32 v15, v17, v41
	v_mov_b32_e32 v16, v12
	v_fmac_f32_e32 v16, 0xbf5db3d7, v15
	v_fmac_f32_e32 v12, 0x3f5db3d7, v15
	v_add_f32_e32 v15, v13, v17
	v_add_f32_e32 v17, v17, v41
	v_fmac_f32_e32 v13, -0.5, v17
	v_add_f32_e32 v15, v15, v41
	v_sub_f32_e32 v41, v64, v65
	v_mov_b32_e32 v17, v13
	v_add_f32_e32 v42, v45, v47
	v_fmac_f32_e32 v17, 0x3f5db3d7, v41
	v_fmac_f32_e32 v13, 0xbf5db3d7, v41
	v_mul_u32_u24_e32 v41, 0x210, v59
	v_add_f32_e32 v5, v10, v5
	v_fma_f32 v2, -0.5, v42, v2
	v_fmac_f32_e32 v3, -0.5, v48
	v_add3_u32 v37, 0, v41, v37
	v_sub_f32_e32 v45, v45, v47
	v_mov_b32_e32 v10, v2
	v_mov_b32_e32 v11, v3
	ds_write2_b64 v37, v[4:5], v[8:9] offset1:22
	ds_write_b64 v37, v[0:1] offset:352
	v_mul_u32_u24_e32 v0, 0x210, v38
	v_lshlrev_b32_e32 v1, 3, v61
	v_add_f32_e32 v7, v46, v7
	v_fmac_f32_e32 v10, 0xbf5db3d7, v44
	v_fmac_f32_e32 v11, 0x3f5db3d7, v45
	v_add3_u32 v0, 0, v0, v1
	v_fmac_f32_e32 v2, 0x3f5db3d7, v44
	v_fmac_f32_e32 v3, 0xbf5db3d7, v45
	ds_write2_b64 v0, v[6:7], v[10:11] offset1:22
	ds_write_b64 v0, v[2:3] offset:352
	v_mul_u32_u24_e32 v0, 0x210, v57
	v_lshlrev_b32_e32 v1, 3, v58
	v_add_f32_e32 v14, v14, v65
	v_add3_u32 v0, 0, v0, v1
	ds_write2_b64 v0, v[30:31], v[32:33] offset1:22
	ds_write_b64 v0, v[18:19] offset:352
	s_and_saveexec_b64 s[4:5], vcc
	s_cbranch_execz .LBB0_25
; %bb.24:
	v_mul_lo_u16_e32 v0, 0x42, v39
	v_lshlrev_b32_e32 v1, 3, v40
	v_lshlrev_b32_e32 v0, 3, v0
	v_add3_u32 v0, 0, v1, v0
	ds_write2_b64 v0, v[14:15], v[16:17] offset1:22
	ds_write_b64 v0, v[12:13] offset:352
.LBB0_25:
	s_or_b64 exec, exec, s[4:5]
	v_add_u32_e32 v4, 0x1400, v36
	v_add_u32_e32 v8, 0x2800, v36
	s_waitcnt lgkmcnt(0)
	s_barrier
	ds_read2_b64 v[0:3], v36 offset1:198
	ds_read2_b64 v[4:7], v4 offset0:20 offset1:218
	ds_read2_b64 v[8:11], v8 offset0:40 offset1:238
	ds_read_b64 v[18:19], v36 offset:3168
	ds_read_b64 v[32:33], v36 offset:8448
	;; [unrolled: 1-line block ×3, first 2 shown]
	s_and_saveexec_b64 s[4:5], vcc
	s_cbranch_execz .LBB0_27
; %bb.26:
	ds_read_b64 v[14:15], v36 offset:4752
	ds_read_b64 v[16:17], v36 offset:10032
	;; [unrolled: 1-line block ×3, first 2 shown]
.LBB0_27:
	s_or_b64 exec, exec, s[4:5]
	s_movk_i32 s4, 0xf9
	v_mul_lo_u16_sdwa v37, v24, s4 dst_sel:DWORD dst_unused:UNUSED_PAD src0_sel:BYTE_0 src1_sel:DWORD
	s_mov_b32 s6, 0xf83f
	v_lshrrev_b16_e32 v49, 14, v37
	v_mul_u32_u24_sdwa v45, v34, s6 dst_sel:DWORD dst_unused:UNUSED_PAD src0_sel:WORD_0 src1_sel:DWORD
	v_mul_lo_u16_e32 v37, 0x42, v49
	v_mul_u32_u24_sdwa v38, v35, s6 dst_sel:DWORD dst_unused:UNUSED_PAD src0_sel:WORD_0 src1_sel:DWORD
	v_lshrrev_b32_e32 v52, 22, v45
	v_sub_u16_e32 v50, v24, v37
	v_mov_b32_e32 v37, 4
	v_lshrrev_b32_e32 v51, 22, v38
	v_mul_lo_u16_e32 v45, 0x42, v52
	v_lshlrev_b32_sdwa v37, v37, v50 dst_sel:DWORD dst_unused:UNUSED_PAD src0_sel:DWORD src1_sel:BYTE_0
	v_mul_lo_u16_e32 v38, 0x42, v51
	v_sub_u16_e32 v34, v34, v45
	v_sub_u16_e32 v35, v35, v38
	global_load_dwordx4 v[37:40], v37, s[12:13] offset:440
	v_lshlrev_b32_e32 v45, 4, v34
	v_lshlrev_b32_e32 v41, 4, v35
	global_load_dwordx4 v[41:44], v41, s[12:13] offset:440
	s_waitcnt vmcnt(1) lgkmcnt(4)
	v_mul_f32_e32 v53, v38, v5
	global_load_dwordx4 v[45:48], v45, s[12:13] offset:440
	v_mul_f32_e32 v38, v38, v4
	s_waitcnt lgkmcnt(3)
	v_mul_f32_e32 v54, v40, v9
	v_mul_f32_e32 v40, v40, v8
	v_fmac_f32_e32 v53, v37, v4
	v_fma_f32 v4, v37, v5, -v38
	v_fma_f32 v5, v39, v9, -v40
	s_waitcnt vmcnt(1)
	v_mul_f32_e32 v55, v42, v7
	v_mul_f32_e32 v42, v42, v6
	;; [unrolled: 1-line block ×4, first 2 shown]
	v_fmac_f32_e32 v54, v39, v8
	v_fmac_f32_e32 v55, v41, v6
	v_fma_f32 v6, v41, v7, -v42
	v_fma_f32 v7, v43, v11, -v44
	v_add_f32_e32 v11, v53, v54
	v_fmac_f32_e32 v56, v43, v10
	v_add_f32_e32 v10, v0, v53
	v_sub_f32_e32 v38, v53, v54
	v_fma_f32 v0, -0.5, v11, v0
	v_sub_f32_e32 v37, v4, v5
	v_add_f32_e32 v41, v6, v7
	v_add_f32_e32 v40, v3, v6
	v_fmac_f32_e32 v3, -0.5, v41
	v_sub_f32_e32 v39, v6, v7
	v_sub_f32_e32 v42, v55, v56
	s_waitcnt vmcnt(0) lgkmcnt(0)
	s_barrier
	v_add_f32_e32 v7, v40, v7
	v_mul_f32_e32 v58, v48, v31
	v_mul_f32_e32 v48, v48, v30
	v_fma_f32 v9, v47, v31, -v48
	v_add_f32_e32 v31, v4, v5
	v_fmac_f32_e32 v58, v47, v30
	v_add_f32_e32 v30, v1, v4
	v_fma_f32 v1, -0.5, v31, v1
	v_mov_b32_e32 v11, v1
	v_mul_f32_e32 v57, v46, v33
	v_mul_f32_e32 v46, v46, v32
	v_add_f32_e32 v4, v10, v54
	v_mov_b32_e32 v10, v0
	v_fmac_f32_e32 v1, 0xbf5db3d7, v38
	v_fmac_f32_e32 v11, 0x3f5db3d7, v38
	v_mov_b32_e32 v38, 3
	v_fma_f32 v8, v45, v33, -v46
	v_add_f32_e32 v33, v55, v56
	v_fmac_f32_e32 v0, 0x3f5db3d7, v37
	v_fmac_f32_e32 v10, 0xbf5db3d7, v37
	v_mul_u32_u24_e32 v37, 0x630, v49
	v_lshlrev_b32_sdwa v38, v38, v50 dst_sel:DWORD dst_unused:UNUSED_PAD src0_sel:DWORD src1_sel:BYTE_0
	v_fmac_f32_e32 v57, v45, v32
	v_add_f32_e32 v32, v2, v55
	v_add_f32_e32 v5, v30, v5
	v_fma_f32 v2, -0.5, v33, v2
	v_add3_u32 v37, 0, v37, v38
	v_add_f32_e32 v44, v57, v58
	v_add_f32_e32 v47, v8, v9
	v_mov_b32_e32 v30, v2
	v_mov_b32_e32 v31, v3
	ds_write2_b64 v37, v[4:5], v[10:11] offset1:66
	ds_write_b64 v37, v[0:1] offset:1056
	v_mul_u32_u24_e32 v0, 0x630, v51
	v_lshlrev_b32_e32 v1, 3, v35
	v_add_f32_e32 v43, v18, v57
	v_add_f32_e32 v46, v19, v8
	;; [unrolled: 1-line block ×3, first 2 shown]
	v_fma_f32 v18, -0.5, v44, v18
	v_fmac_f32_e32 v19, -0.5, v47
	v_fmac_f32_e32 v30, 0xbf5db3d7, v39
	v_fmac_f32_e32 v31, 0x3f5db3d7, v42
	v_add3_u32 v0, 0, v0, v1
	v_sub_f32_e32 v45, v8, v9
	v_sub_f32_e32 v48, v57, v58
	v_fmac_f32_e32 v2, 0x3f5db3d7, v39
	v_fmac_f32_e32 v3, 0xbf5db3d7, v42
	v_mov_b32_e32 v32, v18
	v_mov_b32_e32 v33, v19
	ds_write2_b64 v0, v[6:7], v[30:31] offset1:66
	ds_write_b64 v0, v[2:3] offset:1056
	v_mul_u32_u24_e32 v0, 0x630, v52
	v_lshlrev_b32_e32 v1, 3, v34
	v_add_f32_e32 v8, v43, v58
	v_add_f32_e32 v9, v46, v9
	v_fmac_f32_e32 v32, 0xbf5db3d7, v45
	v_fmac_f32_e32 v33, 0x3f5db3d7, v48
	v_add3_u32 v0, 0, v0, v1
	v_fmac_f32_e32 v18, 0x3f5db3d7, v45
	v_fmac_f32_e32 v19, 0xbf5db3d7, v48
	ds_write2_b64 v0, v[8:9], v[32:33] offset1:66
	ds_write_b64 v0, v[18:19] offset:1056
	s_and_saveexec_b64 s[4:5], vcc
	s_cbranch_execz .LBB0_29
; %bb.28:
	v_mul_u32_u24_sdwa v0, v25, s6 dst_sel:DWORD dst_unused:UNUSED_PAD src0_sel:WORD_0 src1_sel:DWORD
	v_lshrrev_b32_e32 v0, 22, v0
	v_mul_lo_u16_e32 v0, 0x42, v0
	v_sub_u16_e32 v4, v25, v0
	v_lshlrev_b32_e32 v0, 4, v4
	global_load_dwordx4 v[0:3], v0, s[12:13] offset:440
	v_lshl_add_u32 v6, v4, 3, 0
	v_add_u32_e32 v7, 0x3400, v6
	s_waitcnt vmcnt(0)
	v_mul_f32_e32 v4, v16, v1
	v_mul_f32_e32 v5, v12, v3
	;; [unrolled: 1-line block ×4, first 2 shown]
	v_fma_f32 v3, v17, v0, -v4
	v_fma_f32 v4, v13, v2, -v5
	v_fmac_f32_e32 v1, v16, v0
	v_fmac_f32_e32 v8, v12, v2
	v_add_f32_e32 v0, v3, v4
	v_add_f32_e32 v5, v1, v8
	v_sub_f32_e32 v9, v1, v8
	v_add_f32_e32 v2, v15, v3
	v_sub_f32_e32 v10, v3, v4
	v_add_f32_e32 v11, v14, v1
	v_fma_f32 v1, -0.5, v0, v15
	v_fma_f32 v0, -0.5, v5, v14
	v_add_f32_e32 v3, v2, v4
	v_add_f32_e32 v2, v11, v8
	v_mov_b32_e32 v5, v1
	v_fmac_f32_e32 v1, 0x3f5db3d7, v9
	v_mov_b32_e32 v4, v0
	v_fmac_f32_e32 v0, 0xbf5db3d7, v10
	v_fmac_f32_e32 v5, 0xbf5db3d7, v9
	;; [unrolled: 1-line block ×3, first 2 shown]
	ds_write2_b64 v7, v[2:3], v[0:1] offset0:118 offset1:184
	ds_write_b64 v6, v[4:5] offset:15312
.LBB0_29:
	s_or_b64 exec, exec, s[4:5]
	v_lshlrev_b32_e32 v0, 2, v24
	v_mov_b32_e32 v1, 0
	v_lshlrev_b64 v[2:3], 3, v[0:1]
	v_mov_b32_e32 v0, s13
	v_add_co_u32_e32 v10, vcc, s12, v2
	v_addc_co_u32_e32 v11, vcc, v0, v3, vcc
	s_waitcnt lgkmcnt(0)
	s_barrier
	global_load_dwordx4 v[2:5], v[10:11], off offset:1496
	global_load_dwordx4 v[6:9], v[10:11], off offset:1512
	v_add_u32_e32 v35, 0xc00, v36
	v_add_u32_e32 v45, 0x1800, v36
	ds_read2_b64 v[10:13], v36 offset1:198
	v_add_u32_e32 v46, 0x2400, v36
	ds_read2_b64 v[14:17], v35 offset0:12 offset1:210
	v_add_u32_e32 v47, 0x3000, v36
	ds_read2_b64 v[30:33], v45 offset0:24 offset1:222
	ds_read2_b64 v[37:40], v46 offset0:36 offset1:234
	;; [unrolled: 1-line block ×3, first 2 shown]
	s_waitcnt vmcnt(0) lgkmcnt(0)
	s_barrier
	s_movk_i32 s4, 0x1000
	v_mul_f32_e32 v18, v3, v15
	v_mul_f32_e32 v25, v5, v31
	;; [unrolled: 1-line block ×10, first 2 shown]
	v_fmac_f32_e32 v18, v2, v14
	v_fmac_f32_e32 v25, v4, v30
	;; [unrolled: 1-line block ×4, first 2 shown]
	v_mul_f32_e32 v19, v3, v14
	v_mul_f32_e32 v51, v9, v41
	v_mul_f32_e32 v52, v3, v17
	v_mul_f32_e32 v3, v3, v16
	v_mul_f32_e32 v55, v44, v9
	v_mul_f32_e32 v9, v43, v9
	v_fma_f32 v30, v4, v31, -v34
	v_fma_f32 v31, v6, v38, -v49
	v_fmac_f32_e32 v53, v32, v4
	v_fma_f32 v32, v33, v4, -v5
	v_fmac_f32_e32 v54, v39, v6
	v_fma_f32 v33, v40, v6, -v7
	v_sub_f32_e32 v4, v18, v25
	v_sub_f32_e32 v6, v50, v48
	v_add_f32_e32 v7, v18, v50
	v_fma_f32 v19, v2, v15, -v19
	v_fma_f32 v34, v8, v42, -v51
	v_fmac_f32_e32 v52, v2, v16
	v_fma_f32 v37, v2, v17, -v3
	v_fmac_f32_e32 v55, v43, v8
	v_fma_f32 v38, v44, v8, -v9
	v_add_f32_e32 v2, v10, v18
	v_add_f32_e32 v3, v25, v48
	v_sub_f32_e32 v8, v25, v18
	v_sub_f32_e32 v14, v48, v50
	v_add_f32_e32 v39, v4, v6
	v_fma_f32 v4, -0.5, v7, v10
	v_sub_f32_e32 v9, v30, v31
	v_add_f32_e32 v15, v11, v19
	v_add_f32_e32 v16, v30, v31
	v_sub_f32_e32 v17, v18, v50
	v_add_f32_e32 v18, v2, v25
	v_fma_f32 v2, -0.5, v3, v10
	v_add_f32_e32 v10, v8, v14
	v_mov_b32_e32 v8, v4
	v_sub_f32_e32 v5, v19, v34
	v_add_f32_e32 v7, v15, v30
	v_fma_f32 v3, -0.5, v16, v11
	v_mov_b32_e32 v6, v2
	v_fmac_f32_e32 v4, 0xbf737871, v9
	v_fmac_f32_e32 v8, 0x3f737871, v9
	;; [unrolled: 1-line block ×3, first 2 shown]
	v_add_f32_e32 v15, v7, v31
	v_mov_b32_e32 v7, v3
	v_fmac_f32_e32 v6, 0xbf737871, v5
	v_fmac_f32_e32 v4, 0x3f167918, v5
	;; [unrolled: 1-line block ×8, first 2 shown]
	v_sub_f32_e32 v10, v25, v48
	v_sub_f32_e32 v5, v19, v30
	;; [unrolled: 1-line block ×3, first 2 shown]
	v_fmac_f32_e32 v3, 0xbf737871, v17
	v_fmac_f32_e32 v7, 0x3f167918, v10
	v_add_f32_e32 v5, v5, v9
	v_fmac_f32_e32 v3, 0xbf167918, v10
	v_fmac_f32_e32 v7, 0x3e9e377a, v5
	v_fmac_f32_e32 v3, 0x3e9e377a, v5
	v_add_f32_e32 v5, v19, v34
	v_fma_f32 v5, -0.5, v5, v11
	v_mov_b32_e32 v9, v5
	v_fmac_f32_e32 v9, 0xbf737871, v10
	v_sub_f32_e32 v11, v30, v19
	v_sub_f32_e32 v16, v31, v34
	v_fmac_f32_e32 v5, 0x3f737871, v10
	v_fmac_f32_e32 v9, 0x3f167918, v17
	v_add_f32_e32 v11, v11, v16
	v_fmac_f32_e32 v5, 0xbf167918, v17
	v_fmac_f32_e32 v9, 0x3e9e377a, v11
	;; [unrolled: 1-line block ×3, first 2 shown]
	v_add_f32_e32 v11, v53, v54
	v_fma_f32 v16, -0.5, v11, v12
	v_add_f32_e32 v14, v18, v48
	v_sub_f32_e32 v11, v37, v38
	v_mov_b32_e32 v18, v16
	v_fmac_f32_e32 v18, 0xbf737871, v11
	v_sub_f32_e32 v17, v32, v33
	v_sub_f32_e32 v19, v52, v53
	;; [unrolled: 1-line block ×3, first 2 shown]
	v_fmac_f32_e32 v16, 0x3f737871, v11
	v_fmac_f32_e32 v18, 0xbf167918, v17
	v_add_f32_e32 v19, v19, v25
	v_fmac_f32_e32 v16, 0x3f167918, v17
	v_fmac_f32_e32 v18, 0x3e9e377a, v19
	;; [unrolled: 1-line block ×3, first 2 shown]
	v_add_f32_e32 v19, v52, v55
	v_add_f32_e32 v10, v12, v52
	v_fma_f32 v12, -0.5, v19, v12
	v_mov_b32_e32 v30, v12
	v_fmac_f32_e32 v30, 0x3f737871, v17
	v_sub_f32_e32 v19, v53, v52
	v_sub_f32_e32 v25, v54, v55
	v_fmac_f32_e32 v12, 0xbf737871, v17
	v_add_f32_e32 v17, v32, v33
	v_fmac_f32_e32 v30, 0xbf167918, v11
	v_add_f32_e32 v19, v19, v25
	v_fmac_f32_e32 v12, 0x3f167918, v11
	v_fma_f32 v17, -0.5, v17, v13
	v_fmac_f32_e32 v30, 0x3e9e377a, v19
	v_fmac_f32_e32 v12, 0x3e9e377a, v19
	v_sub_f32_e32 v25, v52, v55
	v_mov_b32_e32 v19, v17
	v_add_f32_e32 v15, v15, v34
	v_fmac_f32_e32 v2, 0x3e9e377a, v39
	v_fmac_f32_e32 v6, 0x3e9e377a, v39
	;; [unrolled: 1-line block ×3, first 2 shown]
	v_sub_f32_e32 v34, v53, v54
	v_sub_f32_e32 v31, v37, v32
	;; [unrolled: 1-line block ×3, first 2 shown]
	v_fmac_f32_e32 v17, 0xbf737871, v25
	v_fmac_f32_e32 v19, 0x3f167918, v34
	v_add_f32_e32 v31, v31, v39
	v_fmac_f32_e32 v17, 0xbf167918, v34
	v_fmac_f32_e32 v19, 0x3e9e377a, v31
	v_fmac_f32_e32 v17, 0x3e9e377a, v31
	v_add_f32_e32 v31, v37, v38
	v_add_f32_e32 v11, v13, v37
	v_fmac_f32_e32 v13, -0.5, v31
	v_add_f32_e32 v11, v11, v32
	v_mov_b32_e32 v31, v13
	v_add_f32_e32 v10, v10, v53
	v_add_f32_e32 v11, v11, v33
	v_fmac_f32_e32 v31, 0xbf737871, v34
	v_sub_f32_e32 v32, v32, v37
	v_sub_f32_e32 v33, v33, v38
	v_fmac_f32_e32 v13, 0x3f737871, v34
	v_add_f32_e32 v14, v14, v50
	v_add_f32_e32 v10, v10, v54
	v_fmac_f32_e32 v31, 0x3f167918, v25
	v_add_f32_e32 v32, v32, v33
	v_fmac_f32_e32 v13, 0xbf167918, v25
	v_add_f32_e32 v10, v10, v55
	v_add_f32_e32 v11, v11, v38
	v_fmac_f32_e32 v31, 0x3e9e377a, v32
	v_fmac_f32_e32 v13, 0x3e9e377a, v32
	ds_write2_b64 v36, v[14:15], v[6:7] offset1:198
	ds_write2_b64 v35, v[8:9], v[4:5] offset0:12 offset1:210
	ds_write2_b64 v45, v[2:3], v[10:11] offset0:24 offset1:222
	;; [unrolled: 1-line block ×4, first 2 shown]
	v_add_co_u32_e32 v2, vcc, s12, v26
	v_addc_co_u32_e32 v3, vcc, v0, v27, vcc
	v_add_co_u32_e32 v2, vcc, s4, v2
	v_addc_co_u32_e32 v3, vcc, 0, v3, vcc
	;; [unrolled: 2-line block ×3, first 2 shown]
	s_movk_i32 s4, 0x2000
	s_waitcnt lgkmcnt(0)
	s_barrier
	global_load_dwordx2 v[18:19], v[2:3], off offset:3736
	v_add_co_u32_e32 v2, vcc, s4, v4
	v_addc_co_u32_e32 v3, vcc, 0, v0, vcc
	global_load_dwordx2 v[29:30], v[2:3], off offset:1224
	global_load_dwordx2 v[31:32], v[2:3], off offset:2808
	s_movk_i32 s4, 0x3000
	v_add_co_u32_e32 v2, vcc, s4, v4
	v_addc_co_u32_e32 v3, vcc, 0, v0, vcc
	global_load_dwordx2 v[33:34], v[2:3], off offset:296
	global_load_dwordx2 v[37:38], v[2:3], off offset:1880
	ds_read2_b64 v[2:5], v45 offset0:24 offset1:222
	ds_read2_b64 v[6:9], v36 offset1:198
	ds_read2_b64 v[10:13], v46 offset0:36 offset1:234
	ds_read2_b64 v[14:17], v35 offset0:12 offset1:210
	;; [unrolled: 1-line block ×3, first 2 shown]
	s_waitcnt vmcnt(0) lgkmcnt(0)
	s_barrier
	v_mul_f32_e32 v0, v19, v5
	v_fmac_f32_e32 v0, v18, v4
	v_mul_f32_e32 v4, v19, v4
	v_fma_f32 v5, v18, v5, -v4
	v_sub_f32_e32 v5, v7, v5
	v_mul_f32_e32 v4, v30, v10
	v_mul_f32_e32 v18, v30, v11
	v_fma_f32 v11, v29, v11, -v4
	v_mul_f32_e32 v4, v32, v12
	v_fmac_f32_e32 v18, v29, v10
	v_mul_f32_e32 v19, v32, v13
	v_fma_f32 v13, v31, v13, -v4
	v_mul_f32_e32 v29, v34, v26
	v_mul_f32_e32 v4, v34, v25
	v_fmac_f32_e32 v29, v33, v25
	v_fma_f32 v25, v33, v26, -v4
	v_mul_f32_e32 v26, v38, v28
	v_mul_f32_e32 v4, v38, v27
	v_fmac_f32_e32 v19, v31, v12
	v_fmac_f32_e32 v26, v37, v27
	v_fma_f32 v27, v37, v28, -v4
	v_sub_f32_e32 v4, v6, v0
	v_sub_f32_e32 v10, v8, v18
	;; [unrolled: 1-line block ×3, first 2 shown]
	v_fma_f32 v6, v6, 2.0, -v4
	v_fma_f32 v7, v7, 2.0, -v5
	;; [unrolled: 1-line block ×4, first 2 shown]
	v_sub_f32_e32 v12, v14, v19
	v_sub_f32_e32 v13, v15, v13
	v_sub_f32_e32 v18, v16, v29
	v_sub_f32_e32 v19, v17, v25
	v_sub_f32_e32 v25, v2, v26
	v_sub_f32_e32 v26, v3, v27
	v_fma_f32 v14, v14, 2.0, -v12
	v_fma_f32 v15, v15, 2.0, -v13
	;; [unrolled: 1-line block ×6, first 2 shown]
	ds_write2_b64 v36, v[6:7], v[8:9] offset1:198
	ds_write2_b64 v46, v[10:11], v[12:13] offset0:36 offset1:234
	ds_write2_b64 v35, v[14:15], v[16:17] offset0:12 offset1:210
	;; [unrolled: 1-line block ×4, first 2 shown]
	s_waitcnt lgkmcnt(0)
	s_barrier
	s_and_saveexec_b64 s[4:5], s[0:1]
	s_cbranch_execz .LBB0_31
; %bb.30:
	v_mul_lo_u32 v0, s3, v22
	v_mul_lo_u32 v2, s2, v23
	v_mad_u64_u32 v[6:7], s[0:1], s2, v22, 0
	v_lshl_add_u32 v8, v24, 3, 0
	v_mov_b32_e32 v25, v1
	v_add3_u32 v7, v7, v2, v0
	v_lshlrev_b64 v[6:7], 3, v[6:7]
	v_mov_b32_e32 v0, s11
	v_add_co_u32_e32 v9, vcc, s10, v6
	v_addc_co_u32_e32 v0, vcc, v0, v7, vcc
	v_lshlrev_b64 v[6:7], 3, v[20:21]
	ds_read2_b64 v[2:5], v8 offset1:198
	v_add_co_u32_e32 v9, vcc, v9, v6
	v_addc_co_u32_e32 v10, vcc, v0, v7, vcc
	v_lshlrev_b64 v[6:7], 3, v[24:25]
	v_add_u32_e32 v0, 0xc6, v24
	v_add_co_u32_e32 v6, vcc, v9, v6
	v_addc_co_u32_e32 v7, vcc, v10, v7, vcc
	s_waitcnt lgkmcnt(0)
	global_store_dwordx2 v[6:7], v[2:3], off
	v_lshlrev_b64 v[2:3], 3, v[0:1]
	v_add_u32_e32 v0, 0x18c, v24
	v_add_co_u32_e32 v2, vcc, v9, v2
	v_addc_co_u32_e32 v3, vcc, v10, v3, vcc
	global_store_dwordx2 v[2:3], v[4:5], off
	v_add_u32_e32 v2, 0xc00, v8
	ds_read2_b64 v[2:5], v2 offset0:12 offset1:210
	v_lshlrev_b64 v[6:7], 3, v[0:1]
	v_add_u32_e32 v0, 0x252, v24
	v_add_co_u32_e32 v6, vcc, v9, v6
	v_addc_co_u32_e32 v7, vcc, v10, v7, vcc
	s_waitcnt lgkmcnt(0)
	global_store_dwordx2 v[6:7], v[2:3], off
	v_lshlrev_b64 v[2:3], 3, v[0:1]
	v_add_u32_e32 v0, 0x318, v24
	v_add_co_u32_e32 v2, vcc, v9, v2
	v_addc_co_u32_e32 v3, vcc, v10, v3, vcc
	global_store_dwordx2 v[2:3], v[4:5], off
	v_add_u32_e32 v2, 0x1800, v8
	ds_read2_b64 v[2:5], v2 offset0:24 offset1:222
	;; [unrolled: 13-line block ×3, first 2 shown]
	v_lshlrev_b64 v[6:7], 3, v[0:1]
	v_add_u32_e32 v0, 0x56a, v24
	v_add_co_u32_e32 v6, vcc, v9, v6
	v_addc_co_u32_e32 v7, vcc, v10, v7, vcc
	s_waitcnt lgkmcnt(0)
	global_store_dwordx2 v[6:7], v[2:3], off
	v_lshlrev_b64 v[2:3], 3, v[0:1]
	v_add_u32_e32 v0, 0x630, v24
	v_add_co_u32_e32 v2, vcc, v9, v2
	v_addc_co_u32_e32 v3, vcc, v10, v3, vcc
	global_store_dwordx2 v[2:3], v[4:5], off
	v_add_u32_e32 v2, 0x3000, v8
	v_lshlrev_b64 v[6:7], 3, v[0:1]
	ds_read2_b64 v[2:5], v2 offset0:48 offset1:246
	v_add_u32_e32 v0, 0x6f6, v24
	v_add_co_u32_e32 v6, vcc, v9, v6
	v_lshlrev_b64 v[0:1], 3, v[0:1]
	v_addc_co_u32_e32 v7, vcc, v10, v7, vcc
	v_add_co_u32_e32 v0, vcc, v9, v0
	v_addc_co_u32_e32 v1, vcc, v10, v1, vcc
	s_waitcnt lgkmcnt(0)
	global_store_dwordx2 v[6:7], v[2:3], off
	global_store_dwordx2 v[0:1], v[4:5], off
.LBB0_31:
	s_endpgm
	.section	.rodata,"a",@progbits
	.p2align	6, 0x0
	.amdhsa_kernel fft_rtc_back_len1980_factors_11_2_3_3_5_2_wgs_198_tpt_198_halfLds_sp_op_CI_CI_unitstride_sbrr_C2R_dirReg
		.amdhsa_group_segment_fixed_size 0
		.amdhsa_private_segment_fixed_size 0
		.amdhsa_kernarg_size 104
		.amdhsa_user_sgpr_count 6
		.amdhsa_user_sgpr_private_segment_buffer 1
		.amdhsa_user_sgpr_dispatch_ptr 0
		.amdhsa_user_sgpr_queue_ptr 0
		.amdhsa_user_sgpr_kernarg_segment_ptr 1
		.amdhsa_user_sgpr_dispatch_id 0
		.amdhsa_user_sgpr_flat_scratch_init 0
		.amdhsa_user_sgpr_private_segment_size 0
		.amdhsa_uses_dynamic_stack 0
		.amdhsa_system_sgpr_private_segment_wavefront_offset 0
		.amdhsa_system_sgpr_workgroup_id_x 1
		.amdhsa_system_sgpr_workgroup_id_y 0
		.amdhsa_system_sgpr_workgroup_id_z 0
		.amdhsa_system_sgpr_workgroup_info 0
		.amdhsa_system_vgpr_workitem_id 0
		.amdhsa_next_free_vgpr 89
		.amdhsa_next_free_sgpr 28
		.amdhsa_reserve_vcc 1
		.amdhsa_reserve_flat_scratch 0
		.amdhsa_float_round_mode_32 0
		.amdhsa_float_round_mode_16_64 0
		.amdhsa_float_denorm_mode_32 3
		.amdhsa_float_denorm_mode_16_64 3
		.amdhsa_dx10_clamp 1
		.amdhsa_ieee_mode 1
		.amdhsa_fp16_overflow 0
		.amdhsa_exception_fp_ieee_invalid_op 0
		.amdhsa_exception_fp_denorm_src 0
		.amdhsa_exception_fp_ieee_div_zero 0
		.amdhsa_exception_fp_ieee_overflow 0
		.amdhsa_exception_fp_ieee_underflow 0
		.amdhsa_exception_fp_ieee_inexact 0
		.amdhsa_exception_int_div_zero 0
	.end_amdhsa_kernel
	.text
.Lfunc_end0:
	.size	fft_rtc_back_len1980_factors_11_2_3_3_5_2_wgs_198_tpt_198_halfLds_sp_op_CI_CI_unitstride_sbrr_C2R_dirReg, .Lfunc_end0-fft_rtc_back_len1980_factors_11_2_3_3_5_2_wgs_198_tpt_198_halfLds_sp_op_CI_CI_unitstride_sbrr_C2R_dirReg
                                        ; -- End function
	.section	.AMDGPU.csdata,"",@progbits
; Kernel info:
; codeLenInByte = 9052
; NumSgprs: 32
; NumVgprs: 89
; ScratchSize: 0
; MemoryBound: 0
; FloatMode: 240
; IeeeMode: 1
; LDSByteSize: 0 bytes/workgroup (compile time only)
; SGPRBlocks: 3
; VGPRBlocks: 22
; NumSGPRsForWavesPerEU: 32
; NumVGPRsForWavesPerEU: 89
; Occupancy: 2
; WaveLimiterHint : 1
; COMPUTE_PGM_RSRC2:SCRATCH_EN: 0
; COMPUTE_PGM_RSRC2:USER_SGPR: 6
; COMPUTE_PGM_RSRC2:TRAP_HANDLER: 0
; COMPUTE_PGM_RSRC2:TGID_X_EN: 1
; COMPUTE_PGM_RSRC2:TGID_Y_EN: 0
; COMPUTE_PGM_RSRC2:TGID_Z_EN: 0
; COMPUTE_PGM_RSRC2:TIDIG_COMP_CNT: 0
	.type	__hip_cuid_af26ebcb19e9ae23,@object ; @__hip_cuid_af26ebcb19e9ae23
	.section	.bss,"aw",@nobits
	.globl	__hip_cuid_af26ebcb19e9ae23
__hip_cuid_af26ebcb19e9ae23:
	.byte	0                               ; 0x0
	.size	__hip_cuid_af26ebcb19e9ae23, 1

	.ident	"AMD clang version 19.0.0git (https://github.com/RadeonOpenCompute/llvm-project roc-6.4.0 25133 c7fe45cf4b819c5991fe208aaa96edf142730f1d)"
	.section	".note.GNU-stack","",@progbits
	.addrsig
	.addrsig_sym __hip_cuid_af26ebcb19e9ae23
	.amdgpu_metadata
---
amdhsa.kernels:
  - .args:
      - .actual_access:  read_only
        .address_space:  global
        .offset:         0
        .size:           8
        .value_kind:     global_buffer
      - .offset:         8
        .size:           8
        .value_kind:     by_value
      - .actual_access:  read_only
        .address_space:  global
        .offset:         16
        .size:           8
        .value_kind:     global_buffer
      - .actual_access:  read_only
        .address_space:  global
        .offset:         24
        .size:           8
        .value_kind:     global_buffer
      - .actual_access:  read_only
        .address_space:  global
        .offset:         32
        .size:           8
        .value_kind:     global_buffer
      - .offset:         40
        .size:           8
        .value_kind:     by_value
      - .actual_access:  read_only
        .address_space:  global
        .offset:         48
        .size:           8
        .value_kind:     global_buffer
      - .actual_access:  read_only
        .address_space:  global
        .offset:         56
        .size:           8
        .value_kind:     global_buffer
      - .offset:         64
        .size:           4
        .value_kind:     by_value
      - .actual_access:  read_only
        .address_space:  global
        .offset:         72
        .size:           8
        .value_kind:     global_buffer
      - .actual_access:  read_only
        .address_space:  global
        .offset:         80
        .size:           8
        .value_kind:     global_buffer
      - .actual_access:  read_only
        .address_space:  global
        .offset:         88
        .size:           8
        .value_kind:     global_buffer
      - .actual_access:  write_only
        .address_space:  global
        .offset:         96
        .size:           8
        .value_kind:     global_buffer
    .group_segment_fixed_size: 0
    .kernarg_segment_align: 8
    .kernarg_segment_size: 104
    .language:       OpenCL C
    .language_version:
      - 2
      - 0
    .max_flat_workgroup_size: 198
    .name:           fft_rtc_back_len1980_factors_11_2_3_3_5_2_wgs_198_tpt_198_halfLds_sp_op_CI_CI_unitstride_sbrr_C2R_dirReg
    .private_segment_fixed_size: 0
    .sgpr_count:     32
    .sgpr_spill_count: 0
    .symbol:         fft_rtc_back_len1980_factors_11_2_3_3_5_2_wgs_198_tpt_198_halfLds_sp_op_CI_CI_unitstride_sbrr_C2R_dirReg.kd
    .uniform_work_group_size: 1
    .uses_dynamic_stack: false
    .vgpr_count:     89
    .vgpr_spill_count: 0
    .wavefront_size: 64
amdhsa.target:   amdgcn-amd-amdhsa--gfx906
amdhsa.version:
  - 1
  - 2
...

	.end_amdgpu_metadata
